;; amdgpu-corpus repo=ROCm/rocFFT kind=compiled arch=gfx1030 opt=O3
	.text
	.amdgcn_target "amdgcn-amd-amdhsa--gfx1030"
	.amdhsa_code_object_version 6
	.protected	fft_rtc_fwd_len1080_factors_6_10_6_3_wgs_216_tpt_108_halfLds_sp_ip_CI_unitstride_sbrr_R2C_dirReg ; -- Begin function fft_rtc_fwd_len1080_factors_6_10_6_3_wgs_216_tpt_108_halfLds_sp_ip_CI_unitstride_sbrr_R2C_dirReg
	.globl	fft_rtc_fwd_len1080_factors_6_10_6_3_wgs_216_tpt_108_halfLds_sp_ip_CI_unitstride_sbrr_R2C_dirReg
	.p2align	8
	.type	fft_rtc_fwd_len1080_factors_6_10_6_3_wgs_216_tpt_108_halfLds_sp_ip_CI_unitstride_sbrr_R2C_dirReg,@function
fft_rtc_fwd_len1080_factors_6_10_6_3_wgs_216_tpt_108_halfLds_sp_ip_CI_unitstride_sbrr_R2C_dirReg: ; @fft_rtc_fwd_len1080_factors_6_10_6_3_wgs_216_tpt_108_halfLds_sp_ip_CI_unitstride_sbrr_R2C_dirReg
; %bb.0:
	s_clause 0x2
	s_load_dwordx4 s[8:11], s[4:5], 0x0
	s_load_dwordx2 s[2:3], s[4:5], 0x50
	s_load_dwordx2 s[12:13], s[4:5], 0x18
	v_mul_u32_u24_e32 v1, 0x25f, v0
	v_mov_b32_e32 v3, 0
	v_lshrrev_b32_e32 v9, 16, v1
	v_mov_b32_e32 v1, 0
	v_mov_b32_e32 v6, v3
	v_mov_b32_e32 v2, 0
	v_lshl_add_u32 v5, s6, 1, v9
	s_waitcnt lgkmcnt(0)
	v_cmp_lt_u64_e64 s0, s[10:11], 2
	s_and_b32 vcc_lo, exec_lo, s0
	s_cbranch_vccnz .LBB0_8
; %bb.1:
	s_load_dwordx2 s[0:1], s[4:5], 0x10
	v_mov_b32_e32 v1, 0
	s_add_u32 s6, s12, 8
	v_mov_b32_e32 v2, 0
	s_addc_u32 s7, s13, 0
	s_mov_b64 s[16:17], 1
	s_waitcnt lgkmcnt(0)
	s_add_u32 s14, s0, 8
	s_addc_u32 s15, s1, 0
.LBB0_2:                                ; =>This Inner Loop Header: Depth=1
	s_load_dwordx2 s[18:19], s[14:15], 0x0
                                        ; implicit-def: $vgpr7_vgpr8
	s_mov_b32 s0, exec_lo
	s_waitcnt lgkmcnt(0)
	v_or_b32_e32 v4, s19, v6
	v_cmpx_ne_u64_e32 0, v[3:4]
	s_xor_b32 s1, exec_lo, s0
	s_cbranch_execz .LBB0_4
; %bb.3:                                ;   in Loop: Header=BB0_2 Depth=1
	v_cvt_f32_u32_e32 v4, s18
	v_cvt_f32_u32_e32 v7, s19
	s_sub_u32 s0, 0, s18
	s_subb_u32 s20, 0, s19
	v_fmac_f32_e32 v4, 0x4f800000, v7
	v_rcp_f32_e32 v4, v4
	v_mul_f32_e32 v4, 0x5f7ffffc, v4
	v_mul_f32_e32 v7, 0x2f800000, v4
	v_trunc_f32_e32 v7, v7
	v_fmac_f32_e32 v4, 0xcf800000, v7
	v_cvt_u32_f32_e32 v7, v7
	v_cvt_u32_f32_e32 v4, v4
	v_mul_lo_u32 v8, s0, v7
	v_mul_hi_u32 v10, s0, v4
	v_mul_lo_u32 v11, s20, v4
	v_add_nc_u32_e32 v8, v10, v8
	v_mul_lo_u32 v10, s0, v4
	v_add_nc_u32_e32 v8, v8, v11
	v_mul_hi_u32 v11, v4, v10
	v_mul_lo_u32 v12, v4, v8
	v_mul_hi_u32 v13, v4, v8
	v_mul_hi_u32 v14, v7, v10
	v_mul_lo_u32 v10, v7, v10
	v_mul_hi_u32 v15, v7, v8
	v_mul_lo_u32 v8, v7, v8
	v_add_co_u32 v11, vcc_lo, v11, v12
	v_add_co_ci_u32_e32 v12, vcc_lo, 0, v13, vcc_lo
	v_add_co_u32 v10, vcc_lo, v11, v10
	v_add_co_ci_u32_e32 v10, vcc_lo, v12, v14, vcc_lo
	v_add_co_ci_u32_e32 v11, vcc_lo, 0, v15, vcc_lo
	v_add_co_u32 v8, vcc_lo, v10, v8
	v_add_co_ci_u32_e32 v10, vcc_lo, 0, v11, vcc_lo
	v_add_co_u32 v4, vcc_lo, v4, v8
	v_add_co_ci_u32_e32 v7, vcc_lo, v7, v10, vcc_lo
	v_mul_hi_u32 v8, s0, v4
	v_mul_lo_u32 v11, s20, v4
	v_mul_lo_u32 v10, s0, v7
	v_add_nc_u32_e32 v8, v8, v10
	v_mul_lo_u32 v10, s0, v4
	v_add_nc_u32_e32 v8, v8, v11
	v_mul_hi_u32 v11, v4, v10
	v_mul_lo_u32 v12, v4, v8
	v_mul_hi_u32 v13, v4, v8
	v_mul_hi_u32 v14, v7, v10
	v_mul_lo_u32 v10, v7, v10
	v_mul_hi_u32 v15, v7, v8
	v_mul_lo_u32 v8, v7, v8
	v_add_co_u32 v11, vcc_lo, v11, v12
	v_add_co_ci_u32_e32 v12, vcc_lo, 0, v13, vcc_lo
	v_add_co_u32 v10, vcc_lo, v11, v10
	v_add_co_ci_u32_e32 v10, vcc_lo, v12, v14, vcc_lo
	v_add_co_ci_u32_e32 v11, vcc_lo, 0, v15, vcc_lo
	v_add_co_u32 v8, vcc_lo, v10, v8
	v_add_co_ci_u32_e32 v10, vcc_lo, 0, v11, vcc_lo
	v_add_co_u32 v4, vcc_lo, v4, v8
	v_add_co_ci_u32_e32 v12, vcc_lo, v7, v10, vcc_lo
	v_mul_hi_u32 v14, v5, v4
	v_mad_u64_u32 v[10:11], null, v6, v4, 0
	v_mad_u64_u32 v[7:8], null, v5, v12, 0
	;; [unrolled: 1-line block ×3, first 2 shown]
	v_add_co_u32 v4, vcc_lo, v14, v7
	v_add_co_ci_u32_e32 v7, vcc_lo, 0, v8, vcc_lo
	v_add_co_u32 v4, vcc_lo, v4, v10
	v_add_co_ci_u32_e32 v4, vcc_lo, v7, v11, vcc_lo
	v_add_co_ci_u32_e32 v7, vcc_lo, 0, v13, vcc_lo
	v_add_co_u32 v4, vcc_lo, v4, v12
	v_add_co_ci_u32_e32 v10, vcc_lo, 0, v7, vcc_lo
	v_mul_lo_u32 v11, s19, v4
	v_mad_u64_u32 v[7:8], null, s18, v4, 0
	v_mul_lo_u32 v12, s18, v10
	v_sub_co_u32 v7, vcc_lo, v5, v7
	v_add3_u32 v8, v8, v12, v11
	v_sub_nc_u32_e32 v11, v6, v8
	v_subrev_co_ci_u32_e64 v11, s0, s19, v11, vcc_lo
	v_add_co_u32 v12, s0, v4, 2
	v_add_co_ci_u32_e64 v13, s0, 0, v10, s0
	v_sub_co_u32 v14, s0, v7, s18
	v_sub_co_ci_u32_e32 v8, vcc_lo, v6, v8, vcc_lo
	v_subrev_co_ci_u32_e64 v11, s0, 0, v11, s0
	v_cmp_le_u32_e32 vcc_lo, s18, v14
	v_cmp_eq_u32_e64 s0, s19, v8
	v_cndmask_b32_e64 v14, 0, -1, vcc_lo
	v_cmp_le_u32_e32 vcc_lo, s19, v11
	v_cndmask_b32_e64 v15, 0, -1, vcc_lo
	v_cmp_le_u32_e32 vcc_lo, s18, v7
	;; [unrolled: 2-line block ×3, first 2 shown]
	v_cndmask_b32_e64 v16, 0, -1, vcc_lo
	v_cmp_eq_u32_e32 vcc_lo, s19, v11
	v_cndmask_b32_e64 v7, v16, v7, s0
	v_cndmask_b32_e32 v11, v15, v14, vcc_lo
	v_add_co_u32 v14, vcc_lo, v4, 1
	v_add_co_ci_u32_e32 v15, vcc_lo, 0, v10, vcc_lo
	v_cmp_ne_u32_e32 vcc_lo, 0, v11
	v_cndmask_b32_e32 v8, v15, v13, vcc_lo
	v_cndmask_b32_e32 v11, v14, v12, vcc_lo
	v_cmp_ne_u32_e32 vcc_lo, 0, v7
	v_cndmask_b32_e32 v8, v10, v8, vcc_lo
	v_cndmask_b32_e32 v7, v4, v11, vcc_lo
.LBB0_4:                                ;   in Loop: Header=BB0_2 Depth=1
	s_andn2_saveexec_b32 s0, s1
	s_cbranch_execz .LBB0_6
; %bb.5:                                ;   in Loop: Header=BB0_2 Depth=1
	v_cvt_f32_u32_e32 v4, s18
	s_sub_i32 s1, 0, s18
	v_rcp_iflag_f32_e32 v4, v4
	v_mul_f32_e32 v4, 0x4f7ffffe, v4
	v_cvt_u32_f32_e32 v4, v4
	v_mul_lo_u32 v7, s1, v4
	v_mul_hi_u32 v7, v4, v7
	v_add_nc_u32_e32 v4, v4, v7
	v_mul_hi_u32 v4, v5, v4
	v_mul_lo_u32 v7, v4, s18
	v_add_nc_u32_e32 v8, 1, v4
	v_sub_nc_u32_e32 v7, v5, v7
	v_subrev_nc_u32_e32 v10, s18, v7
	v_cmp_le_u32_e32 vcc_lo, s18, v7
	v_cndmask_b32_e32 v7, v7, v10, vcc_lo
	v_cndmask_b32_e32 v4, v4, v8, vcc_lo
	v_cmp_le_u32_e32 vcc_lo, s18, v7
	v_add_nc_u32_e32 v8, 1, v4
	v_cndmask_b32_e32 v7, v4, v8, vcc_lo
	v_mov_b32_e32 v8, v3
.LBB0_6:                                ;   in Loop: Header=BB0_2 Depth=1
	s_or_b32 exec_lo, exec_lo, s0
	s_load_dwordx2 s[0:1], s[6:7], 0x0
	v_mul_lo_u32 v4, v8, s18
	v_mul_lo_u32 v12, v7, s19
	v_mad_u64_u32 v[10:11], null, v7, s18, 0
	s_add_u32 s16, s16, 1
	s_addc_u32 s17, s17, 0
	s_add_u32 s6, s6, 8
	s_addc_u32 s7, s7, 0
	;; [unrolled: 2-line block ×3, first 2 shown]
	v_add3_u32 v4, v11, v12, v4
	v_sub_co_u32 v5, vcc_lo, v5, v10
	v_sub_co_ci_u32_e32 v4, vcc_lo, v6, v4, vcc_lo
	s_waitcnt lgkmcnt(0)
	v_mul_lo_u32 v6, s1, v5
	v_mul_lo_u32 v4, s0, v4
	v_mad_u64_u32 v[1:2], null, s0, v5, v[1:2]
	v_cmp_ge_u64_e64 s0, s[16:17], s[10:11]
	s_and_b32 vcc_lo, exec_lo, s0
	v_add3_u32 v2, v6, v2, v4
	s_cbranch_vccnz .LBB0_9
; %bb.7:                                ;   in Loop: Header=BB0_2 Depth=1
	v_mov_b32_e32 v5, v7
	v_mov_b32_e32 v6, v8
	s_branch .LBB0_2
.LBB0_8:
	v_mov_b32_e32 v8, v6
	v_mov_b32_e32 v7, v5
.LBB0_9:
	s_lshl_b64 s[0:1], s[10:11], 3
	v_mul_hi_u32 v3, 0x25ed098, v0
	s_add_u32 s0, s12, s0
	s_addc_u32 s1, s13, s1
	v_and_b32_e32 v6, 1, v9
	s_load_dwordx2 s[0:1], s[0:1], 0x0
	s_load_dwordx2 s[4:5], s[4:5], 0x20
	v_mul_u32_u24_e32 v3, 0x6c, v3
	v_sub_nc_u32_e32 v20, v0, v3
	v_add_nc_u32_e32 v24, 0x6c, v20
	s_waitcnt lgkmcnt(0)
	v_mul_lo_u32 v4, s0, v8
	v_mul_lo_u32 v5, s1, v7
	v_mad_u64_u32 v[1:2], null, s0, v7, v[1:2]
	v_cmp_gt_u64_e32 vcc_lo, s[4:5], v[7:8]
	v_cmp_le_u64_e64 s1, s[4:5], v[7:8]
	v_cmp_eq_u32_e64 s0, 1, v6
	v_add3_u32 v2, v5, v2, v4
	s_and_saveexec_b32 s4, s1
	s_xor_b32 s1, exec_lo, s4
; %bb.10:
	v_add_nc_u32_e32 v24, 0x6c, v20
; %bb.11:
	s_or_saveexec_b32 s1, s1
	v_cndmask_b32_e64 v34, 0, 0x439, s0
	v_lshlrev_b64 v[22:23], 3, v[1:2]
	v_lshlrev_b32_e32 v33, 3, v20
	v_lshlrev_b32_e32 v29, 3, v34
	s_xor_b32 exec_lo, exec_lo, s1
	s_cbranch_execz .LBB0_13
; %bb.12:
	v_mov_b32_e32 v21, 0
	v_add_co_u32 v2, s0, s2, v22
	v_add_co_ci_u32_e64 v3, s0, s3, v23, s0
	v_lshlrev_b64 v[0:1], 3, v[20:21]
	v_add3_u32 v21, 0, v29, v33
	v_add_nc_u32_e32 v25, 0x400, v21
	v_add_co_u32 v0, s0, v2, v0
	v_add_co_ci_u32_e64 v1, s0, v3, v1, s0
	v_add_nc_u32_e32 v26, 0xc00, v21
	v_add_co_u32 v2, s0, 0x800, v0
	v_add_co_ci_u32_e64 v3, s0, 0, v1, s0
	v_add_co_u32 v4, s0, 0x1000, v0
	v_add_co_ci_u32_e64 v5, s0, 0, v1, s0
	s_clause 0x3
	global_load_dwordx2 v[6:7], v[0:1], off
	global_load_dwordx2 v[8:9], v[0:1], off offset:864
	global_load_dwordx2 v[10:11], v[0:1], off offset:1728
	;; [unrolled: 1-line block ×3, first 2 shown]
	v_add_co_u32 v0, s0, 0x1800, v0
	v_add_co_ci_u32_e64 v1, s0, 0, v1, s0
	s_clause 0x5
	global_load_dwordx2 v[2:3], v[2:3], off offset:1408
	global_load_dwordx2 v[14:15], v[4:5], off offset:224
	;; [unrolled: 1-line block ×6, first 2 shown]
	v_add_nc_u32_e32 v27, 0x1000, v21
	v_add_nc_u32_e32 v28, 0x1800, v21
	s_waitcnt vmcnt(8)
	ds_write2_b64 v21, v[6:7], v[8:9] offset1:108
	s_waitcnt vmcnt(6)
	ds_write2_b64 v25, v[10:11], v[12:13] offset0:88 offset1:196
	s_waitcnt vmcnt(4)
	ds_write2_b64 v26, v[2:3], v[14:15] offset0:48 offset1:156
	;; [unrolled: 2-line block ×4, first 2 shown]
.LBB0_13:
	s_or_b32 exec_lo, exec_lo, s1
	v_add_nc_u32_e32 v49, 0, v33
	v_add_nc_u32_e32 v32, 0, v29
	s_waitcnt lgkmcnt(0)
	s_barrier
	buffer_gl0_inv
	v_add_nc_u32_e32 v21, v49, v29
	v_add_nc_u32_e32 v31, v32, v33
	v_cmp_gt_u32_e64 s0, 0x48, v20
	v_add_nc_u32_e32 v0, 0x800, v21
	v_add_nc_u32_e32 v27, 0x1000, v21
	;; [unrolled: 1-line block ×4, first 2 shown]
	ds_read2_b64 v[0:3], v0 offset0:32 offset1:104
	ds_read_b64 v[35:36], v31
	ds_read2_b64 v[4:7], v27 offset0:136 offset1:208
	ds_read2_b64 v[12:15], v21 offset0:108 offset1:180
	;; [unrolled: 1-line block ×4, first 2 shown]
	ds_read_b64 v[25:26], v21 offset:8064
	s_waitcnt lgkmcnt(0)
	s_barrier
	buffer_gl0_inv
	v_add_f32_e32 v39, v14, v18
	v_sub_f32_e32 v37, v3, v7
	v_add_f32_e32 v38, v36, v3
	v_add_f32_e32 v3, v3, v7
	;; [unrolled: 1-line block ×3, first 2 shown]
	v_sub_f32_e32 v41, v19, v11
	v_add_f32_e32 v42, v15, v19
	v_add_f32_e32 v19, v19, v11
	;; [unrolled: 1-line block ×4, first 2 shown]
	v_sub_f32_e32 v18, v18, v10
	v_fmac_f32_e32 v36, -0.5, v3
	v_add_f32_e32 v3, v39, v10
	v_fma_f32 v10, -0.5, v40, v14
	v_fma_f32 v14, -0.5, v19, v15
	v_sub_f32_e32 v2, v2, v6
	v_add_f32_e32 v6, v28, v6
	v_fma_f32 v28, -0.5, v30, v35
	v_fmamk_f32 v30, v41, 0x3f5db3d7, v10
	v_fmamk_f32 v35, v18, 0xbf5db3d7, v14
	;; [unrolled: 1-line block ×3, first 2 shown]
	v_fmac_f32_e32 v36, 0x3f5db3d7, v2
	v_fmamk_f32 v15, v37, 0x3f5db3d7, v28
	v_add_f32_e32 v7, v38, v7
	v_mul_f32_e32 v2, 0x3f5db3d7, v35
	v_add_f32_e32 v11, v42, v11
	v_fmac_f32_e32 v10, 0xbf5db3d7, v41
	v_fmac_f32_e32 v14, 0x3f5db3d7, v18
	;; [unrolled: 1-line block ×3, first 2 shown]
	v_fmac_f32_e32 v2, 0.5, v30
	v_add_f32_e32 v37, v6, v3
	v_mul_f32_e32 v18, -0.5, v10
	v_mul_f32_e32 v46, 0xbf5db3d7, v30
	v_mul_f32_e32 v48, -0.5, v14
	v_add_f32_e32 v41, v15, v2
	v_sub_f32_e32 v45, v15, v2
	v_add_f32_e32 v2, v16, v8
	v_add_f32_e32 v38, v7, v11
	v_sub_f32_e32 v39, v6, v3
	v_sub_f32_e32 v40, v7, v11
	v_add_f32_e32 v3, v4, v25
	v_fma_f32 v7, -0.5, v2, v12
	v_add_f32_e32 v2, v5, v26
	v_fmac_f32_e32 v18, 0x3f5db3d7, v14
	v_fmac_f32_e32 v46, 0.5, v35
	v_fmac_f32_e32 v48, 0xbf5db3d7, v10
	v_fma_f32 v3, -0.5, v3, v0
	v_sub_f32_e32 v14, v5, v26
	v_fma_f32 v2, -0.5, v2, v1
	v_sub_f32_e32 v15, v4, v25
	v_add_f32_e32 v42, v19, v46
	v_add_f32_e32 v44, v36, v48
	v_sub_f32_e32 v46, v19, v46
	v_sub_f32_e32 v48, v36, v48
	v_add_f32_e32 v11, v17, v9
	v_fmamk_f32 v19, v14, 0x3f5db3d7, v3
	v_fmamk_f32 v36, v15, 0xbf5db3d7, v2
	v_fmac_f32_e32 v3, 0xbf5db3d7, v14
	v_fmac_f32_e32 v2, 0x3f5db3d7, v15
	v_add_f32_e32 v43, v28, v18
	v_sub_f32_e32 v47, v28, v18
	v_sub_f32_e32 v6, v17, v9
	v_fma_f32 v11, -0.5, v11, v13
	v_sub_f32_e32 v18, v16, v8
	v_mul_f32_e32 v14, 0x3f5db3d7, v36
	v_mul_f32_e32 v15, -0.5, v3
	v_mul_f32_e32 v30, 0xbf5db3d7, v19
	v_mul_f32_e32 v35, -0.5, v2
	v_fmamk_f32 v10, v6, 0x3f5db3d7, v7
	v_fmac_f32_e32 v7, 0xbf5db3d7, v6
	v_fmamk_f32 v28, v18, 0xbf5db3d7, v11
	v_fmac_f32_e32 v11, 0x3f5db3d7, v18
	v_fmac_f32_e32 v14, 0.5, v19
	v_fmac_f32_e32 v15, 0x3f5db3d7, v2
	v_fmac_f32_e32 v30, 0.5, v36
	v_fmac_f32_e32 v35, 0xbf5db3d7, v3
	v_mad_u32_u24 v6, v20, 40, v49
	v_sub_f32_e32 v2, v10, v14
	v_sub_f32_e32 v18, v7, v15
	;; [unrolled: 1-line block ×4, first 2 shown]
	v_add_nc_u32_e32 v36, v6, v29
	ds_write2_b64 v36, v[37:38], v[41:42] offset1:1
	ds_write2_b64 v36, v[43:44], v[39:40] offset0:2 offset1:3
	ds_write2_b64 v36, v[45:46], v[47:48] offset0:4 offset1:5
	s_and_saveexec_b32 s1, s0
	s_cbranch_execz .LBB0_15
; %bb.14:
	v_add_f32_e32 v13, v13, v17
	v_add_f32_e32 v1, v1, v5
	;; [unrolled: 1-line block ×7, first 2 shown]
	v_mul_i32_i24_e32 v8, 6, v24
	v_add_f32_e32 v16, v0, v25
	v_add_f32_e32 v5, v11, v35
	v_sub_f32_e32 v1, v4, v12
	v_add_f32_e32 v9, v28, v30
	v_lshlrev_b32_e32 v17, 3, v8
	v_add_f32_e32 v11, v4, v12
	v_add_f32_e32 v8, v10, v14
	;; [unrolled: 1-line block ×3, first 2 shown]
	v_sub_f32_e32 v0, v13, v16
	v_add3_u32 v12, 0, v17, v29
	v_add_f32_e32 v4, v7, v15
	ds_write2_b64 v12, v[10:11], v[8:9] offset1:1
	ds_write2_b64 v12, v[4:5], v[0:1] offset0:2 offset1:3
	ds_write2_b64 v12, v[2:3], v[18:19] offset0:4 offset1:5
.LBB0_15:
	s_or_b32 exec_lo, exec_lo, s1
	v_and_b32_e32 v0, 0xff, v20
	v_mov_b32_e32 v1, 9
	s_waitcnt lgkmcnt(0)
	s_barrier
	buffer_gl0_inv
	v_mul_lo_u16 v0, 0xab, v0
	v_mad_i32_i24 v37, 0xffffffd8, v20, v6
	v_lshlrev_b32_e32 v4, 3, v24
	v_add_nc_u32_e32 v60, 0x400, v21
	v_lshrrev_b16 v15, 10, v0
	v_add_nc_u32_e32 v35, v37, v29
	v_add3_u32 v36, 0, v4, v29
	v_mul_lo_u16 v0, v15, 6
	v_add_nc_u32_e32 v6, 0x400, v35
	v_and_b32_e32 v25, 0xffff, v15
	v_add_nc_u32_e32 v28, 0x1400, v35
	v_sub_nc_u16 v17, v20, v0
	v_mad_u32_u24 v30, 0x1e0, v25, 0
	v_mul_u32_u24_sdwa v0, v17, v1 dst_sel:DWORD dst_unused:UNUSED_PAD src0_sel:BYTE_0 src1_sel:DWORD
	v_lshlrev_b32_e32 v0, 3, v0
	s_clause 0x4
	global_load_dwordx4 v[7:10], v0, s[8:9]
	global_load_dwordx4 v[11:14], v0, s[8:9] offset:16
	global_load_dwordx4 v[38:41], v0, s[8:9] offset:32
	;; [unrolled: 1-line block ×3, first 2 shown]
	global_load_dwordx2 v[0:1], v0, s[8:9] offset:64
	ds_read_b64 v[4:5], v36
	ds_read2_b64 v[46:49], v6 offset0:88 offset1:196
	ds_read_b64 v[15:16], v35 offset:3456
	ds_read2_b64 v[50:53], v27 offset0:28 offset1:136
	ds_read_b64 v[25:26], v35 offset:7776
	ds_read_b64 v[58:59], v31
	ds_read2_b64 v[54:57], v28 offset0:116 offset1:224
	v_mov_b32_e32 v6, 3
	s_waitcnt vmcnt(0) lgkmcnt(0)
	s_barrier
	buffer_gl0_inv
	v_lshlrev_b32_sdwa v6, v6, v17 dst_sel:DWORD dst_unused:UNUSED_PAD src0_sel:DWORD src1_sel:BYTE_0
	v_add3_u32 v28, v30, v6, v29
	v_mul_f32_e32 v6, v8, v5
	v_mul_f32_e32 v17, v8, v4
	;; [unrolled: 1-line block ×9, first 2 shown]
	v_fma_f32 v4, v7, v4, -v6
	v_fmac_f32_e32 v17, v7, v5
	v_mul_f32_e32 v5, v39, v50
	v_mul_f32_e32 v6, v53, v41
	v_fma_f32 v7, v9, v46, -v8
	v_fmac_f32_e32 v10, v9, v47
	v_mul_f32_e32 v8, v52, v41
	v_mul_f32_e32 v9, v55, v43
	;; [unrolled: 1-line block ×4, first 2 shown]
	v_fma_f32 v30, v11, v48, -v30
	v_fmac_f32_e32 v12, v11, v49
	v_mul_f32_e32 v11, v56, v45
	v_mul_f32_e32 v43, v26, v1
	;; [unrolled: 1-line block ×3, first 2 shown]
	v_fma_f32 v15, v13, v15, -v61
	v_fmac_f32_e32 v14, v13, v16
	v_fma_f32 v13, v38, v50, -v62
	v_fmac_f32_e32 v5, v38, v51
	;; [unrolled: 2-line block ×6, first 2 shown]
	v_add_f32_e32 v46, v59, v10
	v_add_f32_e32 v0, v58, v7
	;; [unrolled: 1-line block ×3, first 2 shown]
	v_sub_f32_e32 v38, v10, v11
	v_sub_f32_e32 v41, v7, v15
	;; [unrolled: 1-line block ×4, first 2 shown]
	v_add_f32_e32 v51, v10, v11
	v_sub_f32_e32 v10, v14, v10
	v_sub_f32_e32 v52, v8, v11
	v_add_f32_e32 v53, v4, v30
	v_add_f32_e32 v54, v13, v9
	;; [unrolled: 1-line block ×4, first 2 shown]
	v_sub_f32_e32 v40, v14, v8
	v_add_f32_e32 v47, v14, v8
	v_add_f32_e32 v62, v30, v25
	;; [unrolled: 1-line block ×4, first 2 shown]
	v_sub_f32_e32 v44, v15, v7
	v_sub_f32_e32 v45, v6, v16
	;; [unrolled: 1-line block ×9, first 2 shown]
	v_add_f32_e32 v0, v0, v15
	v_sub_f32_e32 v15, v13, v9
	v_add_f32_e32 v41, v41, v42
	v_sub_f32_e32 v42, v12, v5
	v_sub_f32_e32 v12, v5, v12
	v_add_f32_e32 v10, v10, v52
	v_add_f32_e32 v13, v53, v13
	v_fma_f32 v52, -0.5, v54, v4
	v_add_f32_e32 v5, v65, v5
	v_fma_f32 v54, -0.5, v26, v58
	v_fma_f32 v26, -0.5, v66, v17
	v_sub_f32_e32 v61, v25, v9
	v_fmac_f32_e32 v4, -0.5, v62
	v_fmac_f32_e32 v17, -0.5, v46
	v_sub_f32_e32 v64, v9, v25
	v_add_f32_e32 v44, v44, v45
	v_sub_f32_e32 v45, v1, v39
	v_add_f32_e32 v49, v49, v50
	v_sub_f32_e32 v50, v39, v1
	v_fma_f32 v47, -0.5, v47, v59
	v_fmac_f32_e32 v59, -0.5, v51
	v_add_f32_e32 v9, v13, v9
	v_fmamk_f32 v13, v55, 0x3f737871, v52
	v_add_f32_e32 v5, v5, v39
	v_fmamk_f32 v39, v30, 0xbf737871, v26
	v_add_f32_e32 v43, v7, v16
	v_add_f32_e32 v51, v57, v61
	;; [unrolled: 1-line block ×3, first 2 shown]
	v_fmamk_f32 v14, v56, 0xbf737871, v4
	v_fmac_f32_e32 v4, 0x3f737871, v56
	v_fmamk_f32 v57, v15, 0x3f737871, v17
	v_fmac_f32_e32 v17, 0xbf737871, v15
	v_fmac_f32_e32 v52, 0xbf737871, v55
	;; [unrolled: 1-line block ×3, first 2 shown]
	v_sub_f32_e32 v7, v7, v16
	v_add_f32_e32 v42, v42, v45
	v_add_f32_e32 v12, v12, v50
	;; [unrolled: 1-line block ×3, first 2 shown]
	v_fmamk_f32 v50, v48, 0x3f737871, v59
	v_fmac_f32_e32 v59, 0xbf737871, v48
	v_fmac_f32_e32 v13, 0x3f167918, v56
	;; [unrolled: 1-line block ×3, first 2 shown]
	v_add_f32_e32 v53, v63, v64
	v_fma_f32 v43, -0.5, v43, v58
	v_fmac_f32_e32 v14, 0x3f167918, v55
	v_fmac_f32_e32 v4, 0xbf167918, v55
	;; [unrolled: 1-line block ×6, first 2 shown]
	v_fmamk_f32 v6, v38, 0x3f737871, v54
	v_fmamk_f32 v46, v7, 0xbf737871, v47
	v_fmac_f32_e32 v47, 0x3f737871, v7
	v_add_f32_e32 v0, v0, v16
	v_fmac_f32_e32 v50, 0xbf167918, v7
	v_fmac_f32_e32 v59, 0x3f167918, v7
	v_add_f32_e32 v7, v9, v25
	v_fmac_f32_e32 v13, 0x3e9e377a, v51
	v_fmac_f32_e32 v39, 0x3e9e377a, v42
	;; [unrolled: 1-line block ×3, first 2 shown]
	v_fmamk_f32 v45, v40, 0xbf737871, v43
	v_fmac_f32_e32 v43, 0x3f737871, v40
	v_add_f32_e32 v11, v8, v11
	v_add_f32_e32 v1, v5, v1
	v_fmac_f32_e32 v14, 0x3e9e377a, v53
	v_fmac_f32_e32 v4, 0x3e9e377a, v53
	;; [unrolled: 1-line block ×10, first 2 shown]
	v_add_f32_e32 v8, v0, v7
	v_sub_f32_e32 v10, v0, v7
	v_mul_f32_e32 v0, 0x3f167918, v39
	v_mul_f32_e32 v30, 0xbf167918, v13
	v_fmac_f32_e32 v54, 0xbf167918, v40
	v_fmac_f32_e32 v45, 0x3f167918, v38
	;; [unrolled: 1-line block ×3, first 2 shown]
	v_add_f32_e32 v9, v11, v1
	v_sub_f32_e32 v11, v11, v1
	v_mul_f32_e32 v1, 0x3f737871, v57
	v_mul_f32_e32 v5, 0x3e9e377a, v4
	;; [unrolled: 1-line block ×4, first 2 shown]
	v_fmac_f32_e32 v47, 0x3f167918, v48
	v_mul_f32_e32 v7, 0x3f4f1bbd, v52
	v_mul_f32_e32 v15, 0x3f4f1bbd, v26
	v_fmac_f32_e32 v6, 0x3e9e377a, v41
	v_fmac_f32_e32 v46, 0x3e9e377a, v49
	;; [unrolled: 1-line block ×8, first 2 shown]
	v_fma_f32 v5, 0x3f737871, v17, -v5
	v_fmac_f32_e32 v40, 0x3e9e377a, v57
	v_fma_f32 v41, 0xbf737871, v4, -v12
	v_fmac_f32_e32 v47, 0x3e9e377a, v49
	v_fma_f32 v7, 0x3f167918, v26, -v7
	v_fma_f32 v42, 0xbf167918, v52, -v15
	v_add_f32_e32 v12, v6, v0
	v_add_f32_e32 v13, v46, v30
	;; [unrolled: 1-line block ×8, first 2 shown]
	v_sub_f32_e32 v16, v6, v0
	v_sub_f32_e32 v4, v45, v1
	;; [unrolled: 1-line block ×8, first 2 shown]
	ds_write2_b64 v28, v[8:9], v[12:13] offset1:6
	ds_write2_b64 v28, v[14:15], v[25:26] offset0:12 offset1:18
	ds_write2_b64 v28, v[38:39], v[10:11] offset0:24 offset1:30
	;; [unrolled: 1-line block ×4, first 2 shown]
	s_waitcnt lgkmcnt(0)
	s_barrier
	buffer_gl0_inv
	ds_read2_b64 v[12:15], v60 offset0:52 offset1:232
	ds_read2_b64 v[8:11], v27 offset0:28 offset1:208
	ds_read_b64 v[25:26], v31
	ds_read_b64 v[27:28], v21 offset:7200
	s_and_saveexec_b32 s1, s0
	s_cbranch_execz .LBB0_17
; %bb.16:
	v_add_nc_u32_e32 v0, 0x1400, v21
	v_add_nc_u32_e32 v4, 0x800, v21
	ds_read2_b64 v[0:3], v0 offset0:8 offset1:188
	ds_read_b64 v[16:17], v36
	ds_read_b64 v[18:19], v21 offset:8064
	ds_read2_b64 v[4:7], v4 offset0:32 offset1:212
.LBB0_17:
	s_or_b32 exec_lo, exec_lo, s1
	v_subrev_nc_u32_e32 v30, 60, v20
	v_cmp_gt_u32_e64 s1, 60, v20
	v_mov_b32_e32 v39, 0
	v_mov_b32_e32 v49, 5
	v_cndmask_b32_e64 v59, v30, v20, s1
	v_and_b32_e32 v30, 0xff, v24
	v_mul_i32_i24_e32 v38, 5, v59
	v_mul_lo_u16 v30, 0x89, v30
	v_lshlrev_b32_e32 v59, 3, v59
	v_lshlrev_b64 v[38:39], 3, v[38:39]
	v_lshrrev_b16 v30, 13, v30
	v_add_co_u32 v47, s1, s8, v38
	v_mul_lo_u16 v38, v30, 60
	v_add_co_ci_u32_e64 v48, s1, s9, v39, s1
	v_cmp_lt_u32_e64 s1, 59, v20
	v_sub_nc_u16 v38, v24, v38
	s_clause 0x2
	global_load_dwordx4 v[39:42], v[47:48], off offset:432
	global_load_dwordx4 v[43:46], v[47:48], off offset:448
	global_load_dwordx2 v[55:56], v[47:48], off offset:464
	v_cndmask_b32_e64 v60, 0, 0xb40, s1
	v_mul_u32_u24_sdwa v47, v38, v49 dst_sel:DWORD dst_unused:UNUSED_PAD src0_sel:BYTE_0 src1_sel:DWORD
	v_add_nc_u32_e32 v60, 0, v60
	v_lshlrev_b32_e32 v57, 3, v47
	s_clause 0x2
	global_load_dwordx4 v[47:50], v57, s[8:9] offset:432
	global_load_dwordx4 v[51:54], v57, s[8:9] offset:448
	global_load_dwordx2 v[57:58], v57, s[8:9] offset:464
	v_add3_u32 v59, v60, v59, v29
	s_waitcnt vmcnt(0) lgkmcnt(0)
	s_barrier
	buffer_gl0_inv
	v_add_nc_u32_e32 v60, 0x400, v59
	v_mul_f32_e32 v61, v40, v13
	v_mul_f32_e32 v40, v40, v12
	;; [unrolled: 1-line block ×10, first 2 shown]
	v_fma_f32 v61, v39, v12, -v61
	v_fmac_f32_e32 v40, v39, v13
	v_fmac_f32_e32 v42, v41, v15
	v_fma_f32 v8, v43, v8, -v63
	v_fmac_f32_e32 v44, v43, v9
	v_fma_f32 v9, v45, v10, -v64
	v_fmac_f32_e32 v46, v45, v11
	v_fma_f32 v10, v55, v27, -v65
	v_fmac_f32_e32 v56, v55, v28
	v_mul_f32_e32 v11, v5, v48
	v_mul_f32_e32 v13, v7, v50
	;; [unrolled: 1-line block ×7, first 2 shown]
	v_fma_f32 v12, v41, v14, -v62
	v_mul_f32_e32 v14, v4, v48
	v_mul_f32_e32 v15, v6, v50
	;; [unrolled: 1-line block ×3, first 2 shown]
	v_sub_f32_e32 v52, v42, v46
	v_add_f32_e32 v54, v26, v42
	v_add_f32_e32 v42, v42, v46
	v_fma_f32 v64, v4, v47, -v11
	v_fma_f32 v4, v6, v49, -v13
	;; [unrolled: 1-line block ×3, first 2 shown]
	v_fmac_f32_e32 v28, v1, v51
	v_fma_f32 v1, v2, v53, -v39
	v_fma_f32 v2, v18, v57, -v43
	v_fmac_f32_e32 v45, v19, v57
	v_add_f32_e32 v48, v25, v12
	v_add_f32_e32 v58, v8, v10
	v_sub_f32_e32 v62, v44, v56
	v_add_f32_e32 v63, v40, v44
	v_add_f32_e32 v44, v44, v56
	v_fmac_f32_e32 v14, v5, v47
	v_fmac_f32_e32 v15, v7, v49
	;; [unrolled: 1-line block ×3, first 2 shown]
	v_add_f32_e32 v5, v54, v46
	v_fmac_f32_e32 v26, -0.5, v42
	v_add_f32_e32 v13, v4, v1
	v_add_f32_e32 v42, v0, v2
	;; [unrolled: 1-line block ×4, first 2 shown]
	v_sub_f32_e32 v12, v12, v9
	v_add_f32_e32 v55, v61, v8
	v_sub_f32_e32 v8, v8, v10
	v_add_f32_e32 v3, v48, v9
	v_fmac_f32_e32 v61, -0.5, v58
	v_fmac_f32_e32 v40, -0.5, v44
	v_add_f32_e32 v9, v16, v4
	v_sub_f32_e32 v19, v15, v41
	v_sub_f32_e32 v39, v4, v1
	v_add_f32_e32 v4, v64, v0
	v_sub_f32_e32 v43, v28, v45
	v_add_f32_e32 v44, v14, v28
	v_sub_f32_e32 v47, v0, v2
	v_fmac_f32_e32 v16, -0.5, v13
	v_fmac_f32_e32 v64, -0.5, v42
	;; [unrolled: 1-line block ×3, first 2 shown]
	v_fma_f32 v18, -0.5, v50, v25
	v_add_f32_e32 v6, v55, v10
	v_add_f32_e32 v7, v63, v56
	v_add_f32_e32 v25, v17, v15
	v_add_f32_e32 v15, v15, v41
	v_fmamk_f32 v50, v62, 0x3f5db3d7, v61
	v_fmac_f32_e32 v61, 0xbf5db3d7, v62
	v_fmamk_f32 v51, v8, 0xbf5db3d7, v40
	v_add_f32_e32 v2, v4, v2
	v_fmamk_f32 v4, v19, 0x3f5db3d7, v16
	v_fmac_f32_e32 v16, 0xbf5db3d7, v19
	v_fmamk_f32 v19, v43, 0x3f5db3d7, v64
	v_fmac_f32_e32 v64, 0xbf5db3d7, v43
	;; [unrolled: 2-line block ×3, first 2 shown]
	v_fmac_f32_e32 v40, 0x3f5db3d7, v8
	v_add_f32_e32 v10, v3, v6
	v_add_f32_e32 v11, v5, v7
	v_sub_f32_e32 v27, v3, v6
	v_sub_f32_e32 v28, v5, v7
	v_add_f32_e32 v0, v9, v1
	v_add_f32_e32 v1, v25, v41
	v_fmac_f32_e32 v17, -0.5, v15
	v_add_f32_e32 v3, v44, v45
	v_mul_f32_e32 v15, 0x3f5db3d7, v51
	v_mul_f32_e32 v25, -0.5, v61
	v_mul_f32_e32 v44, 0xbf5db3d7, v50
	v_mul_f32_e32 v7, 0x3f5db3d7, v46
	v_mul_f32_e32 v6, -0.5, v64
	v_mul_f32_e32 v8, 0xbf5db3d7, v19
	v_mul_f32_e32 v9, -0.5, v14
	v_mul_f32_e32 v45, -0.5, v40
	v_fmamk_f32 v48, v52, 0x3f5db3d7, v18
	v_fmac_f32_e32 v18, 0xbf5db3d7, v52
	v_fmamk_f32 v49, v12, 0xbf5db3d7, v26
	v_fmamk_f32 v5, v39, 0xbf5db3d7, v17
	v_fmac_f32_e32 v17, 0x3f5db3d7, v39
	v_fmac_f32_e32 v15, 0.5, v50
	v_fmac_f32_e32 v25, 0x3f5db3d7, v40
	v_fmac_f32_e32 v44, 0.5, v51
	v_fmac_f32_e32 v7, 0.5, v19
	v_fmac_f32_e32 v6, 0x3f5db3d7, v14
	v_fmac_f32_e32 v8, 0.5, v46
	v_fmac_f32_e32 v9, 0xbf5db3d7, v64
	v_fmac_f32_e32 v26, 0x3f5db3d7, v12
	v_fmac_f32_e32 v45, 0xbf5db3d7, v61
	v_sub_f32_e32 v12, v0, v2
	v_sub_f32_e32 v13, v1, v3
	v_add_f32_e32 v39, v48, v15
	v_add_f32_e32 v41, v18, v25
	;; [unrolled: 1-line block ×3, first 2 shown]
	v_sub_f32_e32 v43, v48, v15
	v_sub_f32_e32 v25, v18, v25
	;; [unrolled: 1-line block ×6, first 2 shown]
	v_add_f32_e32 v42, v26, v45
	v_sub_f32_e32 v44, v49, v44
	v_sub_f32_e32 v26, v26, v45
	ds_write2_b64 v59, v[10:11], v[39:40] offset1:60
	ds_write2_b64 v59, v[41:42], v[27:28] offset0:120 offset1:180
	ds_write2_b64 v60, v[43:44], v[25:26] offset0:112 offset1:172
	s_and_saveexec_b32 s1, s0
	s_cbranch_execz .LBB0_19
; %bb.18:
	v_and_b32_e32 v10, 0xffff, v30
	v_mov_b32_e32 v11, 3
	v_add_f32_e32 v5, v5, v8
	v_add_f32_e32 v1, v1, v3
	;; [unrolled: 1-line block ×3, first 2 shown]
	v_mad_u32_u24 v10, 0xb40, v10, 0
	v_lshlrev_b32_sdwa v11, v11, v38 dst_sel:DWORD dst_unused:UNUSED_PAD src0_sel:DWORD src1_sel:BYTE_0
	v_add_f32_e32 v0, v0, v2
	v_add_f32_e32 v9, v17, v9
	;; [unrolled: 1-line block ×3, first 2 shown]
	v_add3_u32 v10, v10, v11, v29
	v_add_nc_u32_e32 v2, 0x400, v10
	ds_write2_b64 v10, v[0:1], v[4:5] offset1:60
	ds_write2_b64 v10, v[8:9], v[12:13] offset0:120 offset1:180
	ds_write2_b64 v2, v[14:15], v[18:19] offset0:112 offset1:172
.LBB0_19:
	s_or_b32 exec_lo, exec_lo, s1
	v_add_nc_u32_e32 v0, 0x800, v21
	v_add_nc_u32_e32 v1, 0x1000, v21
	;; [unrolled: 1-line block ×3, first 2 shown]
	s_waitcnt lgkmcnt(0)
	s_barrier
	buffer_gl0_inv
	ds_read2_b64 v[8:11], v0 offset0:104 offset1:212
	ds_read2_b64 v[4:7], v1 offset0:64 offset1:208
	;; [unrolled: 1-line block ×3, first 2 shown]
	ds_read_b64 v[27:28], v31
	ds_read_b64 v[25:26], v36
	ds_read_b64 v[16:17], v35 offset:1728
	v_cmp_gt_u32_e64 s0, 36, v20
	s_and_saveexec_b32 s1, s0
	s_cbranch_execz .LBB0_21
; %bb.20:
	ds_read_b64 v[14:15], v21 offset:5472
	ds_read_b64 v[12:13], v35 offset:2592
	;; [unrolled: 1-line block ×3, first 2 shown]
.LBB0_21:
	s_or_b32 exec_lo, exec_lo, s1
	v_mov_b32_e32 v30, 0
	v_lshlrev_b32_e32 v29, 1, v20
	v_lshlrev_b32_e32 v38, 1, v24
	v_mov_b32_e32 v39, v30
	v_lshlrev_b64 v[40:41], 3, v[29:30]
	v_add_nc_u32_e32 v29, 0x1b0, v29
	v_lshlrev_b64 v[38:39], 3, v[38:39]
	v_add_co_u32 v40, s1, s8, v40
	v_add_co_ci_u32_e64 v41, s1, s9, v41, s1
	v_lshlrev_b64 v[42:43], 3, v[29:30]
	v_add_co_u32 v40, s1, 0x800, v40
	v_add_co_ci_u32_e64 v41, s1, 0, v41, s1
	v_add_co_u32 v29, s1, s8, v38
	v_add_co_ci_u32_e64 v44, s1, s9, v39, s1
	;; [unrolled: 2-line block ×4, first 2 shown]
	global_load_dwordx4 v[38:41], v[40:41], off offset:784
	v_add_co_u32 v46, s1, 0x800, v45
	v_add_co_ci_u32_e64 v47, s1, 0, v47, s1
	s_clause 0x1
	global_load_dwordx4 v[42:45], v[42:43], off offset:784
	global_load_dwordx4 v[46:49], v[46:47], off offset:784
	v_lshl_add_u32 v29, v34, 3, v37
	s_waitcnt vmcnt(0) lgkmcnt(0)
	s_barrier
	buffer_gl0_inv
	v_add_nc_u32_e32 v34, 0x1000, v29
	v_add_nc_u32_e32 v29, 0x1c00, v29
	v_mul_f32_e32 v37, v39, v9
	v_mul_f32_e32 v39, v39, v8
	;; [unrolled: 1-line block ×4, first 2 shown]
	v_fma_f32 v8, v38, v8, -v37
	v_fmac_f32_e32 v39, v38, v9
	v_mul_f32_e32 v9, v43, v10
	v_fmac_f32_e32 v41, v40, v7
	v_mul_f32_e32 v7, v43, v11
	v_mul_f32_e32 v37, v45, v1
	;; [unrolled: 1-line block ×3, first 2 shown]
	v_fma_f32 v6, v40, v6, -v50
	v_mul_f32_e32 v40, v47, v5
	v_mul_f32_e32 v43, v47, v4
	;; [unrolled: 1-line block ×4, first 2 shown]
	v_fma_f32 v7, v42, v10, -v7
	v_fmac_f32_e32 v9, v42, v11
	v_fma_f32 v10, v44, v0, -v37
	v_fmac_f32_e32 v38, v44, v1
	v_add_f32_e32 v0, v27, v8
	v_fma_f32 v4, v46, v4, -v40
	v_fmac_f32_e32 v43, v46, v5
	v_fma_f32 v11, v48, v2, -v45
	v_fmac_f32_e32 v47, v48, v3
	v_add_f32_e32 v1, v8, v6
	v_add_f32_e32 v2, v28, v39
	;; [unrolled: 1-line block ×3, first 2 shown]
	v_sub_f32_e32 v3, v39, v41
	v_sub_f32_e32 v8, v8, v6
	v_add_f32_e32 v0, v0, v6
	v_add_f32_e32 v6, v7, v10
	v_sub_f32_e32 v37, v9, v38
	v_add_f32_e32 v39, v26, v9
	v_add_f32_e32 v9, v9, v38
	v_fma_f32 v27, -0.5, v1, v27
	v_add_f32_e32 v1, v2, v41
	v_fmac_f32_e32 v28, -0.5, v5
	v_add_f32_e32 v41, v4, v11
	v_sub_f32_e32 v42, v43, v47
	v_add_f32_e32 v44, v17, v43
	v_add_f32_e32 v43, v43, v47
	;; [unrolled: 1-line block ×3, first 2 shown]
	v_sub_f32_e32 v40, v7, v10
	v_fma_f32 v25, -0.5, v6, v25
	v_fmac_f32_e32 v26, -0.5, v9
	v_add_f32_e32 v7, v16, v4
	v_sub_f32_e32 v45, v4, v11
	v_fmamk_f32 v2, v3, 0x3f5db3d7, v27
	v_fmac_f32_e32 v27, 0xbf5db3d7, v3
	v_fmamk_f32 v3, v8, 0xbf5db3d7, v28
	v_fmac_f32_e32 v28, 0x3f5db3d7, v8
	v_fma_f32 v8, -0.5, v41, v16
	v_fmac_f32_e32 v17, -0.5, v43
	v_add_f32_e32 v4, v5, v10
	v_add_f32_e32 v5, v39, v38
	ds_write_b64 v21, v[0:1]
	v_fmamk_f32 v0, v37, 0x3f5db3d7, v25
	v_fmamk_f32 v1, v40, 0xbf5db3d7, v26
	v_fmac_f32_e32 v25, 0xbf5db3d7, v37
	v_fmac_f32_e32 v26, 0x3f5db3d7, v40
	v_add_f32_e32 v6, v7, v11
	v_add_f32_e32 v7, v44, v47
	v_fmamk_f32 v9, v42, 0x3f5db3d7, v8
	v_fmac_f32_e32 v8, 0xbf5db3d7, v42
	v_fmamk_f32 v10, v45, 0xbf5db3d7, v17
	v_fmac_f32_e32 v17, 0x3f5db3d7, v45
	ds_write_b64 v21, v[2:3] offset:2880
	ds_write_b64 v21, v[27:28] offset:5760
	ds_write_b64 v36, v[4:5]
	ds_write_b64 v36, v[0:1] offset:2880
	ds_write_b64 v36, v[25:26] offset:5760
	;; [unrolled: 1-line block ×3, first 2 shown]
	ds_write2_b32 v34, v9, v10 offset0:128 offset1:129
	ds_write2_b32 v29, v8, v17 offset0:80 offset1:81
	s_and_saveexec_b32 s1, s0
	s_cbranch_execz .LBB0_23
; %bb.22:
	v_mov_b32_e32 v0, 0x144
	v_cndmask_b32_e64 v0, 0xffffffdc, v0, s0
	v_add_lshl_u32 v29, v20, v0, 1
	v_lshlrev_b64 v[0:1], 3, v[29:30]
	v_add_co_u32 v0, s0, s8, v0
	v_add_co_ci_u32_e64 v1, s0, s9, v1, s0
	v_add_co_u32 v0, s0, 0x800, v0
	v_add_co_ci_u32_e64 v1, s0, 0, v1, s0
	global_load_dwordx4 v[0:3], v[0:1], off offset:784
	s_waitcnt vmcnt(0)
	v_mul_f32_e32 v4, v15, v1
	v_mul_f32_e32 v5, v14, v1
	;; [unrolled: 1-line block ×4, first 2 shown]
	v_fma_f32 v3, v14, v0, -v4
	v_fmac_f32_e32 v5, v15, v0
	v_fmac_f32_e32 v6, v19, v2
	v_fma_f32 v2, v18, v2, -v1
	v_add_f32_e32 v9, v12, v3
	v_add_f32_e32 v8, v13, v5
	;; [unrolled: 1-line block ×4, first 2 shown]
	v_sub_f32_e32 v4, v3, v2
	v_sub_f32_e32 v10, v5, v6
	v_add_f32_e32 v3, v8, v6
	v_fma_f32 v1, -0.5, v0, v13
	v_fma_f32 v0, -0.5, v7, v12
	v_add_f32_e32 v2, v9, v2
	v_fmamk_f32 v5, v4, 0x3f5db3d7, v1
	v_fmac_f32_e32 v1, 0xbf5db3d7, v4
	v_fmamk_f32 v4, v10, 0xbf5db3d7, v0
	v_fmac_f32_e32 v0, 0x3f5db3d7, v10
	ds_write_b64 v21, v[2:3] offset:2592
	ds_write_b64 v21, v[0:1] offset:5472
	;; [unrolled: 1-line block ×3, first 2 shown]
.LBB0_23:
	s_or_b32 exec_lo, exec_lo, s1
	s_waitcnt lgkmcnt(0)
	s_barrier
	buffer_gl0_inv
	ds_read_b64 v[2:3], v31
	v_sub_nc_u32_e32 v4, v32, v33
	s_add_u32 s1, s8, 0x2190
	s_addc_u32 s4, s9, 0
	s_mov_b32 s5, exec_lo
                                        ; implicit-def: $vgpr6
                                        ; implicit-def: $vgpr5
                                        ; implicit-def: $vgpr0_vgpr1
	v_cmpx_ne_u32_e32 0, v20
	s_xor_b32 s5, exec_lo, s5
	s_cbranch_execz .LBB0_25
; %bb.24:
	v_mov_b32_e32 v21, 0
	ds_read_b64 v[5:6], v4 offset:8640
	v_lshlrev_b64 v[0:1], 3, v[20:21]
	v_add_co_u32 v0, s0, s1, v0
	v_add_co_ci_u32_e64 v1, s0, s4, v1, s0
	global_load_dwordx2 v[0:1], v[0:1], off
	s_waitcnt lgkmcnt(0)
	v_sub_f32_e32 v7, v2, v5
	v_add_f32_e32 v8, v6, v3
	v_sub_f32_e32 v3, v3, v6
	v_add_f32_e32 v2, v5, v2
	v_mul_f32_e32 v6, 0.5, v7
	v_mul_f32_e32 v7, 0.5, v8
	;; [unrolled: 1-line block ×3, first 2 shown]
	s_waitcnt vmcnt(0)
	v_mul_f32_e32 v8, v1, v6
	v_fma_f32 v9, v7, v1, v3
	v_fma_f32 v1, v7, v1, -v3
	v_fma_f32 v5, 0.5, v2, v8
	v_fma_f32 v2, v2, 0.5, -v8
	v_fma_f32 v3, -v0, v6, v9
	v_fma_f32 v8, -v0, v6, v1
	ds_write_b32 v31, v3 offset:4
	ds_write_b32 v4, v8 offset:8644
	v_fmac_f32_e32 v5, v0, v7
	v_fma_f32 v6, -v0, v7, v2
	v_mov_b32_e32 v0, v20
	v_mov_b32_e32 v1, v21
                                        ; implicit-def: $vgpr2_vgpr3
.LBB0_25:
	s_andn2_saveexec_b32 s0, s5
	s_cbranch_execz .LBB0_27
; %bb.26:
	v_mov_b32_e32 v0, 0
	s_waitcnt lgkmcnt(0)
	v_add_f32_e32 v5, v2, v3
	v_sub_f32_e32 v6, v2, v3
	ds_write_b32 v31, v0 offset:4
	ds_write_b32 v4, v0 offset:8644
	ds_read_b32 v0, v32 offset:4324
	s_waitcnt lgkmcnt(0)
	v_xor_b32_e32 v7, 0x80000000, v0
	v_mov_b32_e32 v0, 0
	v_mov_b32_e32 v1, 0
	ds_write_b32 v32, v7 offset:4324
.LBB0_27:
	s_or_b32 exec_lo, exec_lo, s0
	v_mov_b32_e32 v25, 0
	v_lshlrev_b64 v[0:1], 3, v[0:1]
	v_lshl_add_u32 v15, v24, 3, v32
	s_waitcnt lgkmcnt(0)
	v_lshlrev_b64 v[2:3], 3, v[24:25]
	v_add_co_u32 v2, s0, s1, v2
	v_add_co_ci_u32_e64 v3, s0, s4, v3, s0
	v_add_co_u32 v7, s0, s1, v0
	v_add_co_ci_u32_e64 v8, s0, s4, v1, s0
	s_clause 0x1
	global_load_dwordx2 v[2:3], v[2:3], off
	global_load_dwordx2 v[9:10], v[7:8], off offset:1728
	v_add_co_u32 v7, s0, 0x800, v7
	v_add_co_ci_u32_e64 v8, s0, 0, v8, s0
	s_clause 0x1
	global_load_dwordx2 v[11:12], v[7:8], off offset:544
	global_load_dwordx2 v[7:8], v[7:8], off offset:1408
	ds_write_b32 v31, v5
	ds_write_b32 v4, v6 offset:8640
	ds_read_b64 v[5:6], v15
	ds_read_b64 v[13:14], v4 offset:7776
	s_waitcnt lgkmcnt(0)
	v_sub_f32_e32 v16, v5, v13
	v_add_f32_e32 v17, v6, v14
	v_sub_f32_e32 v6, v6, v14
	v_add_f32_e32 v5, v5, v13
	v_mul_f32_e32 v14, 0.5, v16
	v_mul_f32_e32 v16, 0.5, v17
	;; [unrolled: 1-line block ×3, first 2 shown]
	s_waitcnt vmcnt(3)
	v_mul_f32_e32 v13, v3, v14
	v_fma_f32 v17, v16, v3, v6
	v_fma_f32 v3, v16, v3, -v6
	v_fma_f32 v6, 0.5, v5, v13
	v_fma_f32 v5, v5, 0.5, -v13
	v_fma_f32 v13, -v2, v14, v17
	v_fma_f32 v3, -v2, v14, v3
	v_fmac_f32_e32 v6, v2, v16
	v_fma_f32 v2, -v2, v16, v5
	ds_write2_b32 v15, v6, v13 offset1:1
	ds_write_b64 v4, v[2:3] offset:7776
	ds_read_b64 v[2:3], v31 offset:1728
	ds_read_b64 v[5:6], v4 offset:6912
	s_waitcnt lgkmcnt(0)
	v_sub_f32_e32 v13, v2, v5
	v_add_f32_e32 v14, v3, v6
	v_sub_f32_e32 v3, v3, v6
	v_add_f32_e32 v2, v2, v5
	v_mul_f32_e32 v6, 0.5, v13
	v_mul_f32_e32 v13, 0.5, v14
	;; [unrolled: 1-line block ×3, first 2 shown]
	s_waitcnt vmcnt(2)
	v_mul_f32_e32 v5, v10, v6
	v_fma_f32 v14, v13, v10, v3
	v_fma_f32 v3, v13, v10, -v3
	v_fma_f32 v10, 0.5, v2, v5
	v_fma_f32 v5, v2, 0.5, -v5
	v_add_nc_u32_e32 v2, 0x400, v31
	v_fma_f32 v14, -v9, v6, v14
	v_fma_f32 v6, -v9, v6, v3
	v_fmac_f32_e32 v10, v9, v13
	v_fma_f32 v5, -v9, v13, v5
	ds_write2_b32 v2, v10, v14 offset0:176 offset1:177
	ds_write_b64 v4, v[5:6] offset:6912
	ds_read_b64 v[5:6], v31 offset:2592
	ds_read_b64 v[9:10], v4 offset:6048
	s_waitcnt lgkmcnt(0)
	v_sub_f32_e32 v3, v5, v9
	v_add_f32_e32 v13, v6, v10
	v_sub_f32_e32 v6, v6, v10
	v_add_f32_e32 v5, v5, v9
	v_mul_f32_e32 v3, 0.5, v3
	v_mul_f32_e32 v10, 0.5, v13
	;; [unrolled: 1-line block ×3, first 2 shown]
	s_waitcnt vmcnt(1)
	v_mul_f32_e32 v9, v12, v3
	v_fma_f32 v13, v10, v12, v6
	v_fma_f32 v6, v10, v12, -v6
	v_fma_f32 v12, 0.5, v5, v9
	v_fma_f32 v5, v5, 0.5, -v9
	v_add_nc_u32_e32 v9, 0x800, v31
	v_fma_f32 v13, -v11, v3, v13
	v_fma_f32 v6, -v11, v3, v6
	v_fmac_f32_e32 v12, v11, v10
	v_fma_f32 v5, -v11, v10, v5
	ds_write2_b32 v9, v12, v13 offset0:136 offset1:137
	ds_write_b64 v4, v[5:6] offset:6048
	ds_read_b64 v[5:6], v31 offset:3456
	ds_read_b64 v[9:10], v4 offset:5184
	s_waitcnt lgkmcnt(0)
	v_sub_f32_e32 v3, v5, v9
	v_add_f32_e32 v11, v6, v10
	v_sub_f32_e32 v6, v6, v10
	v_add_f32_e32 v5, v5, v9
	v_mul_f32_e32 v10, 0.5, v3
	v_mul_f32_e32 v11, 0.5, v11
	;; [unrolled: 1-line block ×3, first 2 shown]
	s_waitcnt vmcnt(0)
	v_mul_f32_e32 v6, v8, v10
	v_fma_f32 v9, v11, v8, v3
	v_fma_f32 v8, v11, v8, -v3
	v_add_nc_u32_e32 v3, 0xc00, v31
	v_fma_f32 v12, 0.5, v5, v6
	v_fma_f32 v5, v5, 0.5, -v6
	v_fma_f32 v9, -v7, v10, v9
	v_fma_f32 v6, -v7, v10, v8
	v_fmac_f32_e32 v12, v7, v11
	v_fma_f32 v5, -v7, v11, v5
	ds_write2_b32 v3, v12, v9 offset0:96 offset1:97
	ds_write_b64 v4, v[5:6] offset:5184
	s_waitcnt lgkmcnt(0)
	s_barrier
	buffer_gl0_inv
	s_and_saveexec_b32 s0, vcc_lo
	s_cbranch_execz .LBB0_30
; %bb.28:
	ds_read2_b64 v[4:7], v31 offset1:108
	ds_read2_b64 v[8:11], v2 offset0:88 offset1:196
	ds_read2_b64 v[12:15], v3 offset0:48 offset1:156
	v_add_co_u32 v2, vcc_lo, s2, v22
	v_add_nc_u32_e32 v16, 0x1000, v31
	v_add_nc_u32_e32 v21, 0x1800, v31
	v_add_co_ci_u32_e32 v3, vcc_lo, s3, v23, vcc_lo
	v_add_co_u32 v0, vcc_lo, v2, v0
	ds_read2_b64 v[16:19], v16 offset0:136 offset1:244
	ds_read2_b64 v[21:24], v21 offset0:96 offset1:204
	v_add_co_ci_u32_e32 v1, vcc_lo, v3, v1, vcc_lo
	v_add_co_u32 v25, vcc_lo, 0x800, v0
	v_add_co_ci_u32_e32 v26, vcc_lo, 0, v1, vcc_lo
	s_waitcnt lgkmcnt(4)
	global_store_dwordx2 v[0:1], v[4:5], off
	global_store_dwordx2 v[0:1], v[6:7], off offset:864
	s_waitcnt lgkmcnt(3)
	global_store_dwordx2 v[0:1], v[8:9], off offset:1728
	global_store_dwordx2 v[25:26], v[10:11], off offset:544
	s_waitcnt lgkmcnt(2)
	global_store_dwordx2 v[25:26], v[12:13], off offset:1408
	v_add_co_u32 v4, vcc_lo, 0x1000, v0
	v_add_co_ci_u32_e32 v5, vcc_lo, 0, v1, vcc_lo
	v_add_co_u32 v0, vcc_lo, 0x1800, v0
	v_add_co_ci_u32_e32 v1, vcc_lo, 0, v1, vcc_lo
	v_cmp_eq_u32_e32 vcc_lo, 0x6b, v20
	global_store_dwordx2 v[4:5], v[14:15], off offset:224
	s_waitcnt lgkmcnt(1)
	global_store_dwordx2 v[4:5], v[16:17], off offset:1088
	global_store_dwordx2 v[4:5], v[18:19], off offset:1952
	s_waitcnt lgkmcnt(0)
	global_store_dwordx2 v[0:1], v[21:22], off offset:768
	global_store_dwordx2 v[0:1], v[23:24], off offset:1632
	s_and_b32 exec_lo, exec_lo, vcc_lo
	s_cbranch_execz .LBB0_30
; %bb.29:
	ds_read_b64 v[0:1], v31 offset:7784
	v_add_co_u32 v2, vcc_lo, 0x2000, v2
	v_add_co_ci_u32_e32 v3, vcc_lo, 0, v3, vcc_lo
	s_waitcnt lgkmcnt(0)
	global_store_dwordx2 v[2:3], v[0:1], off offset:448
.LBB0_30:
	s_endpgm
	.section	.rodata,"a",@progbits
	.p2align	6, 0x0
	.amdhsa_kernel fft_rtc_fwd_len1080_factors_6_10_6_3_wgs_216_tpt_108_halfLds_sp_ip_CI_unitstride_sbrr_R2C_dirReg
		.amdhsa_group_segment_fixed_size 0
		.amdhsa_private_segment_fixed_size 0
		.amdhsa_kernarg_size 88
		.amdhsa_user_sgpr_count 6
		.amdhsa_user_sgpr_private_segment_buffer 1
		.amdhsa_user_sgpr_dispatch_ptr 0
		.amdhsa_user_sgpr_queue_ptr 0
		.amdhsa_user_sgpr_kernarg_segment_ptr 1
		.amdhsa_user_sgpr_dispatch_id 0
		.amdhsa_user_sgpr_flat_scratch_init 0
		.amdhsa_user_sgpr_private_segment_size 0
		.amdhsa_wavefront_size32 1
		.amdhsa_uses_dynamic_stack 0
		.amdhsa_system_sgpr_private_segment_wavefront_offset 0
		.amdhsa_system_sgpr_workgroup_id_x 1
		.amdhsa_system_sgpr_workgroup_id_y 0
		.amdhsa_system_sgpr_workgroup_id_z 0
		.amdhsa_system_sgpr_workgroup_info 0
		.amdhsa_system_vgpr_workitem_id 0
		.amdhsa_next_free_vgpr 67
		.amdhsa_next_free_sgpr 21
		.amdhsa_reserve_vcc 1
		.amdhsa_reserve_flat_scratch 0
		.amdhsa_float_round_mode_32 0
		.amdhsa_float_round_mode_16_64 0
		.amdhsa_float_denorm_mode_32 3
		.amdhsa_float_denorm_mode_16_64 3
		.amdhsa_dx10_clamp 1
		.amdhsa_ieee_mode 1
		.amdhsa_fp16_overflow 0
		.amdhsa_workgroup_processor_mode 1
		.amdhsa_memory_ordered 1
		.amdhsa_forward_progress 0
		.amdhsa_shared_vgpr_count 0
		.amdhsa_exception_fp_ieee_invalid_op 0
		.amdhsa_exception_fp_denorm_src 0
		.amdhsa_exception_fp_ieee_div_zero 0
		.amdhsa_exception_fp_ieee_overflow 0
		.amdhsa_exception_fp_ieee_underflow 0
		.amdhsa_exception_fp_ieee_inexact 0
		.amdhsa_exception_int_div_zero 0
	.end_amdhsa_kernel
	.text
.Lfunc_end0:
	.size	fft_rtc_fwd_len1080_factors_6_10_6_3_wgs_216_tpt_108_halfLds_sp_ip_CI_unitstride_sbrr_R2C_dirReg, .Lfunc_end0-fft_rtc_fwd_len1080_factors_6_10_6_3_wgs_216_tpt_108_halfLds_sp_ip_CI_unitstride_sbrr_R2C_dirReg
                                        ; -- End function
	.section	.AMDGPU.csdata,"",@progbits
; Kernel info:
; codeLenInByte = 7096
; NumSgprs: 23
; NumVgprs: 67
; ScratchSize: 0
; MemoryBound: 0
; FloatMode: 240
; IeeeMode: 1
; LDSByteSize: 0 bytes/workgroup (compile time only)
; SGPRBlocks: 2
; VGPRBlocks: 8
; NumSGPRsForWavesPerEU: 23
; NumVGPRsForWavesPerEU: 67
; Occupancy: 12
; WaveLimiterHint : 1
; COMPUTE_PGM_RSRC2:SCRATCH_EN: 0
; COMPUTE_PGM_RSRC2:USER_SGPR: 6
; COMPUTE_PGM_RSRC2:TRAP_HANDLER: 0
; COMPUTE_PGM_RSRC2:TGID_X_EN: 1
; COMPUTE_PGM_RSRC2:TGID_Y_EN: 0
; COMPUTE_PGM_RSRC2:TGID_Z_EN: 0
; COMPUTE_PGM_RSRC2:TIDIG_COMP_CNT: 0
	.text
	.p2alignl 6, 3214868480
	.fill 48, 4, 3214868480
	.type	__hip_cuid_5db235b9c379abbf,@object ; @__hip_cuid_5db235b9c379abbf
	.section	.bss,"aw",@nobits
	.globl	__hip_cuid_5db235b9c379abbf
__hip_cuid_5db235b9c379abbf:
	.byte	0                               ; 0x0
	.size	__hip_cuid_5db235b9c379abbf, 1

	.ident	"AMD clang version 19.0.0git (https://github.com/RadeonOpenCompute/llvm-project roc-6.4.0 25133 c7fe45cf4b819c5991fe208aaa96edf142730f1d)"
	.section	".note.GNU-stack","",@progbits
	.addrsig
	.addrsig_sym __hip_cuid_5db235b9c379abbf
	.amdgpu_metadata
---
amdhsa.kernels:
  - .args:
      - .actual_access:  read_only
        .address_space:  global
        .offset:         0
        .size:           8
        .value_kind:     global_buffer
      - .offset:         8
        .size:           8
        .value_kind:     by_value
      - .actual_access:  read_only
        .address_space:  global
        .offset:         16
        .size:           8
        .value_kind:     global_buffer
      - .actual_access:  read_only
        .address_space:  global
        .offset:         24
        .size:           8
        .value_kind:     global_buffer
      - .offset:         32
        .size:           8
        .value_kind:     by_value
      - .actual_access:  read_only
        .address_space:  global
        .offset:         40
        .size:           8
        .value_kind:     global_buffer
      - .actual_access:  read_only
        .address_space:  global
        .offset:         48
        .size:           8
        .value_kind:     global_buffer
      - .offset:         56
        .size:           4
        .value_kind:     by_value
      - .actual_access:  read_only
        .address_space:  global
        .offset:         64
        .size:           8
        .value_kind:     global_buffer
      - .actual_access:  read_only
        .address_space:  global
        .offset:         72
        .size:           8
        .value_kind:     global_buffer
      - .address_space:  global
        .offset:         80
        .size:           8
        .value_kind:     global_buffer
    .group_segment_fixed_size: 0
    .kernarg_segment_align: 8
    .kernarg_segment_size: 88
    .language:       OpenCL C
    .language_version:
      - 2
      - 0
    .max_flat_workgroup_size: 216
    .name:           fft_rtc_fwd_len1080_factors_6_10_6_3_wgs_216_tpt_108_halfLds_sp_ip_CI_unitstride_sbrr_R2C_dirReg
    .private_segment_fixed_size: 0
    .sgpr_count:     23
    .sgpr_spill_count: 0
    .symbol:         fft_rtc_fwd_len1080_factors_6_10_6_3_wgs_216_tpt_108_halfLds_sp_ip_CI_unitstride_sbrr_R2C_dirReg.kd
    .uniform_work_group_size: 1
    .uses_dynamic_stack: false
    .vgpr_count:     67
    .vgpr_spill_count: 0
    .wavefront_size: 32
    .workgroup_processor_mode: 1
amdhsa.target:   amdgcn-amd-amdhsa--gfx1030
amdhsa.version:
  - 1
  - 2
...

	.end_amdgpu_metadata
